;; amdgpu-corpus repo=ROCm/rocFFT kind=compiled arch=gfx1030 opt=O3
	.text
	.amdgcn_target "amdgcn-amd-amdhsa--gfx1030"
	.amdhsa_code_object_version 6
	.protected	fft_rtc_fwd_len192_factors_2_2_3_4_4_wgs_192_tpt_12_dim3_sp_ip_CI_sbrr_dirReg ; -- Begin function fft_rtc_fwd_len192_factors_2_2_3_4_4_wgs_192_tpt_12_dim3_sp_ip_CI_sbrr_dirReg
	.globl	fft_rtc_fwd_len192_factors_2_2_3_4_4_wgs_192_tpt_12_dim3_sp_ip_CI_sbrr_dirReg
	.p2align	8
	.type	fft_rtc_fwd_len192_factors_2_2_3_4_4_wgs_192_tpt_12_dim3_sp_ip_CI_sbrr_dirReg,@function
fft_rtc_fwd_len192_factors_2_2_3_4_4_wgs_192_tpt_12_dim3_sp_ip_CI_sbrr_dirReg: ; @fft_rtc_fwd_len192_factors_2_2_3_4_4_wgs_192_tpt_12_dim3_sp_ip_CI_sbrr_dirReg
; %bb.0:
	s_load_dwordx4 s[0:3], s[4:5], 0x8
	v_mul_u32_u24_e32 v1, 0x1556, v0
	v_mov_b32_e32 v4, 0
	v_lshrrev_b32_e32 v36, 16, v1
	v_mov_b32_e32 v1, 0
	v_mov_b32_e32 v2, 0
	v_lshl_add_u32 v3, s6, 4, v36
	s_mov_b32 s6, exec_lo
	v_mov_b32_e32 v6, v2
	v_mov_b32_e32 v5, v1
	s_waitcnt lgkmcnt(0)
	s_load_dwordx2 s[8:9], s[0:1], 0x8
	s_waitcnt lgkmcnt(0)
	v_cmpx_le_u64_e64 s[8:9], v[3:4]
	s_cbranch_execz .LBB0_2
; %bb.1:
	v_cvt_f32_u32_e32 v5, s8
	s_sub_i32 s7, 0, s8
	v_rcp_iflag_f32_e32 v5, v5
	v_mul_f32_e32 v5, 0x4f7ffffe, v5
	v_cvt_u32_f32_e32 v5, v5
	v_mul_lo_u32 v6, s7, v5
	v_mul_hi_u32 v6, v5, v6
	v_add_nc_u32_e32 v5, v5, v6
	v_mul_hi_u32 v5, v3, v5
	v_mul_lo_u32 v6, v5, s8
	v_add_nc_u32_e32 v7, 1, v5
	v_sub_nc_u32_e32 v6, v3, v6
	v_subrev_nc_u32_e32 v8, s8, v6
	v_cmp_le_u32_e32 vcc_lo, s8, v6
	v_cndmask_b32_e32 v6, v6, v8, vcc_lo
	v_cndmask_b32_e32 v5, v5, v7, vcc_lo
	v_cmp_le_u32_e32 vcc_lo, s8, v6
	v_add_nc_u32_e32 v7, 1, v5
	v_mov_b32_e32 v6, v4
	v_cndmask_b32_e32 v5, v5, v7, vcc_lo
.LBB0_2:
	s_or_b32 exec_lo, exec_lo, s6
	s_load_dwordx2 s[6:7], s[0:1], 0x10
	s_load_dwordx2 s[0:1], s[2:3], 0x8
	s_mov_b32 s10, exec_lo
	s_waitcnt lgkmcnt(0)
	v_cmpx_le_u64_e64 s[6:7], v[5:6]
	s_cbranch_execz .LBB0_4
; %bb.3:
	v_cvt_f32_u32_e32 v1, s6
	s_sub_i32 s11, 0, s6
	v_rcp_iflag_f32_e32 v1, v1
	v_mul_f32_e32 v1, 0x4f7ffffe, v1
	v_cvt_u32_f32_e32 v1, v1
	v_mul_lo_u32 v2, s11, v1
	v_mul_hi_u32 v2, v1, v2
	v_add_nc_u32_e32 v1, v1, v2
	v_mul_hi_u32 v1, v5, v1
	v_mul_lo_u32 v2, v1, s6
	v_add_nc_u32_e32 v4, 1, v1
	v_sub_nc_u32_e32 v2, v5, v2
	v_subrev_nc_u32_e32 v7, s6, v2
	v_cmp_le_u32_e32 vcc_lo, s6, v2
	v_cndmask_b32_e32 v2, v2, v7, vcc_lo
	v_cndmask_b32_e32 v1, v1, v4, vcc_lo
	v_cmp_le_u32_e32 vcc_lo, s6, v2
	v_add_nc_u32_e32 v4, 1, v1
	v_mov_b32_e32 v2, 0
	v_cndmask_b32_e32 v1, v1, v4, vcc_lo
.LBB0_4:
	s_or_b32 exec_lo, exec_lo, s10
	v_mad_u64_u32 v[7:8], null, v5, s8, 0
                                        ; implicit-def: $vgpr54
                                        ; implicit-def: $vgpr55
                                        ; implicit-def: $vgpr56
                                        ; implicit-def: $vgpr67
                                        ; implicit-def: $vgpr37
	v_mov_b32_e32 v4, v8
	v_mad_u64_u32 v[8:9], null, v1, s6, 0
	v_sub_co_u32 v7, vcc_lo, v3, v7
	v_mad_u64_u32 v[10:11], null, v5, s9, v[4:5]
	s_load_dwordx4 s[8:11], s[2:3], 0x10
	v_mul_lo_u32 v11, s1, v7
	v_mov_b32_e32 v4, v9
	s_load_dwordx2 s[2:3], s[2:3], 0x0
	v_mov_b32_e32 v9, v10
	v_mad_u64_u32 v[3:4], null, v1, s7, v[4:5]
	v_sub_co_ci_u32_e32 v4, vcc_lo, 0, v9, vcc_lo
	v_mad_u64_u32 v[9:10], null, s0, v7, 0
	v_sub_co_u32 v5, vcc_lo, v5, v8
	v_mul_lo_u32 v4, s0, v4
	v_mov_b32_e32 v7, 0x1556
	v_sub_co_ci_u32_e32 v3, vcc_lo, v6, v3, vcc_lo
	s_clause 0x2
	s_load_dwordx2 s[0:1], s[4:5], 0x18
	s_load_dwordx2 s[6:7], s[4:5], 0x48
	;; [unrolled: 1-line block ×3, first 2 shown]
	v_mul_u32_u24_sdwa v6, v0, v7 dst_sel:DWORD dst_unused:UNUSED_PAD src0_sel:WORD_0 src1_sel:DWORD
	s_waitcnt lgkmcnt(0)
	v_mul_lo_u32 v7, s9, v5
	v_add3_u32 v10, v10, v4, v11
	v_mul_lo_u32 v8, s8, v3
	v_mad_u64_u32 v[3:4], null, s8, v5, v[9:10]
	v_lshrrev_b32_e32 v5, 16, v6
                                        ; implicit-def: $sgpr8_sgpr9
	v_mul_lo_u16 v5, v5, 12
	v_add3_u32 v4, v7, v4, v8
	v_cmp_gt_u64_e32 vcc_lo, s[0:1], v[1:2]
	v_sub_nc_u16 v0, v0, v5
	v_mad_u64_u32 v[3:4], null, s10, v1, v[3:4]
	v_cmp_le_u64_e64 s0, s[0:1], v[1:2]
	v_and_b32_e32 v44, 0xffff, v0
	v_mov_b32_e32 v0, v4
	v_add_nc_u32_e32 v45, 12, v44
	v_add_nc_u32_e32 v47, 24, v44
	;; [unrolled: 1-line block ×3, first 2 shown]
	v_or_b32_e32 v49, 48, v44
	v_mad_u64_u32 v[0:1], null, s11, v1, v[0:1]
	v_add_nc_u32_e32 v46, 60, v44
	v_add_nc_u32_e32 v34, 0x48, v44
	;; [unrolled: 1-line block ×3, first 2 shown]
	s_and_saveexec_b32 s1, s0
	s_xor_b32 s0, exec_lo, s1
; %bb.5:
	v_add_nc_u32_e32 v54, 12, v44
	v_add_nc_u32_e32 v55, 24, v44
	;; [unrolled: 1-line block ×3, first 2 shown]
	v_or_b32_e32 v67, 48, v44
	v_add_nc_u32_e32 v37, 60, v44
	v_add_nc_u32_e32 v34, 0x48, v44
	;; [unrolled: 1-line block ×3, first 2 shown]
	s_mov_b64 s[8:9], 0
; %bb.6:
	s_or_saveexec_b32 s1, s0
	v_mov_b32_e32 v4, v0
	v_mov_b32_e32 v0, s8
	;; [unrolled: 1-line block ×5, first 2 shown]
	v_lshlrev_b64 v[24:25], 3, v[3:4]
	v_mov_b32_e32 v2, s8
	v_mov_b32_e32 v21, s9
	;; [unrolled: 1-line block ×5, first 2 shown]
	v_or_b32_e32 v52, 0x60, v44
	v_add_nc_u32_e32 v50, 0x6c, v44
	v_or_b32_e32 v53, 0x90, v44
	v_add_nc_u32_e32 v51, 0x9c, v44
	v_mov_b32_e32 v3, s9
	v_mov_b32_e32 v10, s8
	;; [unrolled: 1-line block ×7, first 2 shown]
                                        ; implicit-def: $vgpr5
                                        ; implicit-def: $vgpr13
                                        ; implicit-def: $vgpr33
                                        ; implicit-def: $vgpr27
                                        ; implicit-def: $vgpr23
                                        ; implicit-def: $vgpr31
                                        ; implicit-def: $vgpr15
                                        ; implicit-def: $vgpr7
	s_xor_b32 exec_lo, exec_lo, s1
	s_cbranch_execz .LBB0_8
; %bb.7:
	v_mad_u64_u32 v[0:1], null, s2, v44, 0
	v_mad_u64_u32 v[2:3], null, s2, v52, 0
	;; [unrolled: 1-line block ×4, first 2 shown]
	v_add_co_u32 v56, s0, s6, v24
	v_mad_u64_u32 v[8:9], null, s3, v44, v[1:2]
	v_mad_u64_u32 v[9:10], null, s3, v52, v[3:4]
	;; [unrolled: 1-line block ×3, first 2 shown]
	v_mov_b32_e32 v5, v7
	v_add_co_ci_u32_e64 v57, s0, s7, v25, s0
	v_mov_b32_e32 v1, v8
	v_mov_b32_e32 v3, v9
	v_mad_u64_u32 v[7:8], null, s3, v50, v[5:6]
	v_mov_b32_e32 v5, v10
	v_lshlrev_b64 v[0:1], 3, v[0:1]
	v_lshlrev_b64 v[2:3], 3, v[2:3]
	v_mad_u64_u32 v[11:12], null, s2, v47, 0
	v_lshlrev_b64 v[4:5], 3, v[4:5]
	v_add_nc_u32_e32 v19, 0x78, v44
	v_add_co_u32 v0, s0, v56, v0
	v_add_co_ci_u32_e64 v1, s0, v57, v1, s0
	v_add_co_u32 v2, s0, v56, v2
	v_add_co_ci_u32_e64 v3, s0, v57, v3, s0
	v_mov_b32_e32 v8, v12
	v_add_co_u32 v9, s0, v56, v4
	v_add_co_ci_u32_e64 v10, s0, v57, v5, s0
	v_lshlrev_b64 v[4:5], 3, v[6:7]
	v_mad_u64_u32 v[6:7], null, s3, v47, v[8:9]
	v_mad_u64_u32 v[13:14], null, s2, v19, 0
	v_add_nc_u32_e32 v21, 0x84, v44
	v_mad_u64_u32 v[15:16], null, s2, v48, 0
	v_add_co_u32 v7, s0, v56, v4
	v_mad_u64_u32 v[17:18], null, s2, v21, 0
	v_mov_b32_e32 v4, v14
	v_mov_b32_e32 v12, v6
	v_add_co_ci_u32_e64 v8, s0, v57, v5, s0
	v_mov_b32_e32 v14, v16
	v_mad_u64_u32 v[19:20], null, s3, v19, v[4:5]
	s_clause 0x3
	global_load_dwordx2 v[0:1], v[0:1], off
	global_load_dwordx2 v[4:5], v[2:3], off
	;; [unrolled: 1-line block ×4, first 2 shown]
	v_lshlrev_b64 v[9:10], 3, v[11:12]
	v_mov_b32_e32 v8, v18
	v_mad_u64_u32 v[11:12], null, s3, v48, v[14:15]
	v_mad_u64_u32 v[26:27], null, s2, v46, 0
	v_mad_u64_u32 v[20:21], null, s3, v21, v[8:9]
	v_mov_b32_e32 v14, v19
	v_add_co_u32 v8, s0, v56, v9
	v_mov_b32_e32 v16, v11
	v_add_co_ci_u32_e64 v9, s0, v57, v10, s0
	v_mov_b32_e32 v18, v20
	v_mad_u64_u32 v[19:20], null, s2, v49, 0
	v_lshlrev_b64 v[12:13], 3, v[13:14]
	v_lshlrev_b64 v[10:11], 3, v[15:16]
	;; [unrolled: 1-line block ×3, first 2 shown]
	v_mad_u64_u32 v[16:17], null, s2, v53, 0
	v_add_nc_u32_e32 v39, 0xa8, v44
	v_add_co_u32 v12, s0, v56, v12
	v_mov_b32_e32 v18, v20
	v_add_co_ci_u32_e64 v13, s0, v57, v13, s0
	v_add_co_u32 v21, s0, v56, v10
	v_add_co_ci_u32_e64 v22, s0, v57, v11, s0
	v_mad_u64_u32 v[10:11], null, s3, v49, v[18:19]
	v_mov_b32_e32 v11, v17
	v_add_co_u32 v14, s0, v56, v14
	v_add_co_ci_u32_e64 v15, s0, v57, v15, s0
	v_mad_u64_u32 v[17:18], null, s3, v53, v[11:12]
	v_mov_b32_e32 v20, v10
	s_clause 0x3
	global_load_dwordx2 v[10:11], v[8:9], off
	global_load_dwordx2 v[12:13], v[12:13], off
	;; [unrolled: 1-line block ×4, first 2 shown]
	v_mad_u64_u32 v[21:22], null, s2, v51, 0
	v_mad_u64_u32 v[30:31], null, s2, v39, 0
	v_lshlrev_b64 v[18:19], 3, v[19:20]
	v_mov_b32_e32 v20, v27
	v_lshlrev_b64 v[16:17], 3, v[16:17]
	v_mad_u64_u32 v[37:38], null, s2, v35, 0
	v_mov_b32_e32 v67, v49
	v_mad_u64_u32 v[27:28], null, s3, v46, v[20:21]
	v_mad_u64_u32 v[28:29], null, s2, v34, 0
	v_mov_b32_e32 v20, v22
	v_add_co_u32 v18, s0, v56, v18
	v_add_co_ci_u32_e64 v19, s0, v57, v19, s0
	v_mad_u64_u32 v[22:23], null, s3, v51, v[20:21]
	v_mov_b32_e32 v20, v29
	v_add_nc_u32_e32 v23, 0xb4, v44
	v_lshlrev_b64 v[26:27], 3, v[26:27]
	v_add_co_u32 v16, s0, v56, v16
	v_mad_u64_u32 v[32:33], null, s3, v34, v[20:21]
	v_mov_b32_e32 v20, v31
	v_add_co_ci_u32_e64 v17, s0, v57, v17, s0
	v_add_co_u32 v26, s0, v56, v26
	v_mad_u64_u32 v[39:40], null, s3, v39, v[20:21]
	v_lshlrev_b64 v[21:22], 3, v[21:22]
	v_mad_u64_u32 v[40:41], null, s2, v23, 0
	v_mov_b32_e32 v20, v38
	v_mov_b32_e32 v29, v32
	v_add_co_ci_u32_e64 v27, s0, v57, v27, s0
	v_add_co_u32 v42, s0, v56, v21
	v_mad_u64_u32 v[32:33], null, s3, v35, v[20:21]
	v_add_co_ci_u32_e64 v43, s0, v57, v22, s0
	v_lshlrev_b64 v[21:22], 3, v[28:29]
	v_mov_b32_e32 v20, v41
	v_mov_b32_e32 v31, v39
	;; [unrolled: 1-line block ×3, first 2 shown]
	v_mad_u64_u32 v[28:29], null, s3, v23, v[20:21]
	v_lshlrev_b64 v[29:30], 3, v[30:31]
	v_add_co_u32 v54, s0, v56, v21
	v_lshlrev_b64 v[20:21], 3, v[37:38]
	v_add_co_ci_u32_e64 v55, s0, v57, v22, s0
	v_mov_b32_e32 v41, v28
	v_add_co_u32 v22, s0, v56, v29
	v_add_co_ci_u32_e64 v23, s0, v57, v30, s0
	v_lshlrev_b64 v[28:29], 3, v[40:41]
	v_add_co_u32 v37, s0, v56, v20
	v_add_co_ci_u32_e64 v38, s0, v57, v21, s0
	v_add_co_u32 v39, s0, v56, v28
	v_add_co_ci_u32_e64 v40, s0, v57, v29, s0
	s_clause 0x7
	global_load_dwordx2 v[28:29], v[18:19], off
	global_load_dwordx2 v[32:33], v[16:17], off
	;; [unrolled: 1-line block ×8, first 2 shown]
	v_mov_b32_e32 v37, v46
	v_mov_b32_e32 v56, v48
	;; [unrolled: 1-line block ×4, first 2 shown]
.LBB0_8:
	s_or_b32 exec_lo, exec_lo, s1
	v_and_b32_e32 v36, 15, v36
	s_waitcnt vmcnt(14)
	v_sub_f32_e32 v4, v0, v4
	v_sub_f32_e32 v5, v1, v5
	s_waitcnt vmcnt(12)
	v_sub_f32_e32 v6, v2, v6
	v_sub_f32_e32 v7, v3, v7
	v_mul_u32_u24_e32 v36, 0xc0, v36
	s_waitcnt vmcnt(10)
	v_sub_f32_e32 v12, v10, v12
	v_sub_f32_e32 v13, v11, v13
	s_waitcnt vmcnt(8)
	v_sub_f32_e32 v14, v8, v14
	v_sub_f32_e32 v15, v9, v15
	v_lshlrev_b32_e32 v66, 3, v36
	v_fma_f32 v0, v0, 2.0, -v4
	v_fma_f32 v1, v1, 2.0, -v5
	s_waitcnt vmcnt(6)
	v_sub_f32_e32 v32, v28, v32
	v_sub_f32_e32 v33, v29, v33
	v_add_nc_u32_e32 v36, 0, v66
	v_fma_f32 v2, v2, 2.0, -v6
	v_fma_f32 v3, v3, 2.0, -v7
	s_waitcnt vmcnt(4)
	v_sub_f32_e32 v30, v20, v30
	v_sub_f32_e32 v31, v21, v31
	v_lshl_add_u32 v38, v44, 4, v36
	v_lshl_add_u32 v39, v54, 4, v36
	v_fma_f32 v10, v10, 2.0, -v12
	v_fma_f32 v11, v11, 2.0, -v13
	s_waitcnt vmcnt(2)
	v_sub_f32_e32 v26, v18, v26
	v_sub_f32_e32 v27, v19, v27
	v_lshl_add_u32 v40, v55, 4, v36
	v_fma_f32 v8, v8, 2.0, -v14
	v_fma_f32 v9, v9, 2.0, -v15
	v_lshl_add_u32 v41, v56, 4, v36
	v_fma_f32 v28, v28, 2.0, -v32
	v_fma_f32 v29, v29, 2.0, -v33
	s_waitcnt vmcnt(0)
	v_sub_f32_e32 v22, v16, v22
	v_sub_f32_e32 v23, v17, v23
	ds_write2_b64 v38, v[0:1], v[4:5] offset1:1
	ds_write2_b64 v39, v[2:3], v[6:7] offset1:1
	;; [unrolled: 1-line block ×4, first 2 shown]
	v_lshl_add_u32 v0, v67, 4, v36
	v_and_b32_e32 v3, 1, v44
	v_fma_f32 v20, v20, 2.0, -v30
	v_fma_f32 v21, v21, 2.0, -v31
	v_lshl_add_u32 v1, v37, 4, v36
	v_fma_f32 v18, v18, 2.0, -v26
	v_fma_f32 v19, v19, 2.0, -v27
	v_lshl_add_u32 v2, v34, 4, v36
	;; [unrolled: 3-line block ×3, first 2 shown]
	ds_write2_b64 v0, v[28:29], v[32:33] offset1:1
	ds_write2_b64 v1, v[20:21], v[30:31] offset1:1
	;; [unrolled: 1-line block ×3, first 2 shown]
	v_lshlrev_b32_e32 v0, 3, v3
	v_lshlrev_b32_e32 v1, 1, v55
	;; [unrolled: 1-line block ×3, first 2 shown]
	ds_write2_b64 v4, v[16:17], v[22:23] offset1:1
	s_waitcnt lgkmcnt(0)
	s_barrier
	buffer_gl0_inv
	global_load_dwordx2 v[12:13], v0, s[4:5]
	v_lshlrev_b32_e32 v0, 1, v54
	v_lshlrev_b32_e32 v8, 3, v44
	;; [unrolled: 1-line block ×7, first 2 shown]
	v_and_or_b32 v0, v0, 60, v3
	v_and_or_b32 v1, 0x7c, v1, v3
	;; [unrolled: 1-line block ×3, first 2 shown]
	v_add3_u32 v57, 0, v8, v66
	v_and_or_b32 v4, 0x7c, v4, v3
	v_and_or_b32 v5, 0xfc, v5, v3
	v_and_or_b32 v6, 0xbc, v6, v3
	v_and_or_b32 v9, v38, 28, v3
	v_and_or_b32 v10, 0xfc, v7, v3
	v_lshl_add_u32 v40, v0, 3, v36
	v_lshl_add_u32 v41, v1, 3, v36
	;; [unrolled: 1-line block ×3, first 2 shown]
	ds_read2_b64 v[0:3], v57 offset0:96 offset1:108
	v_lshl_add_u32 v43, v4, 3, v36
	v_lshl_add_u32 v68, v5, 3, v36
	;; [unrolled: 1-line block ×3, first 2 shown]
	ds_read2_b64 v[4:7], v57 offset0:120 offset1:132
	v_add_nc_u32_e32 v59, v36, v8
	v_lshl_add_u32 v63, v55, 3, v36
	v_lshl_add_u32 v61, v54, 3, v36
	v_add_nc_u32_e32 v22, 0x400, v57
	v_lshl_add_u32 v65, v56, 3, v36
	v_lshl_add_u32 v58, v67, 3, v36
	;; [unrolled: 1-line block ×7, first 2 shown]
	ds_read2_b64 v[8:11], v57 offset0:144 offset1:156
	ds_read_b64 v[14:15], v59
	ds_read_b64 v[16:17], v63
	;; [unrolled: 1-line block ×3, first 2 shown]
	ds_read_b64 v[20:21], v57 offset:1344
	ds_read2_b32 v[22:23], v22 offset0:104 offset1:105
	ds_read_b64 v[28:29], v65
	ds_read_b64 v[30:31], v58
	;; [unrolled: 1-line block ×5, first 2 shown]
	s_waitcnt vmcnt(0) lgkmcnt(0)
	s_barrier
	buffer_gl0_inv
	v_cmp_gt_u16_e64 s0, 4, v44
	v_mul_f32_e32 v26, v13, v1
	v_mul_f32_e32 v27, v13, v0
	;; [unrolled: 1-line block ×16, first 2 shown]
	v_fma_f32 v0, v12, v0, -v26
	v_fmac_f32_e32 v27, v12, v1
	v_fma_f32 v2, v12, v2, -v71
	v_fmac_f32_e32 v72, v12, v3
	;; [unrolled: 2-line block ×8, first 2 shown]
	v_sub_f32_e32 v0, v14, v0
	v_sub_f32_e32 v1, v15, v27
	;; [unrolled: 1-line block ×16, first 2 shown]
	v_fma_f32 v14, v14, 2.0, -v0
	v_fma_f32 v15, v15, 2.0, -v1
	;; [unrolled: 1-line block ×16, first 2 shown]
	ds_write2_b64 v39, v[14:15], v[0:1] offset1:2
	ds_write2_b64 v40, v[18:19], v[2:3] offset1:2
	;; [unrolled: 1-line block ×8, first 2 shown]
	s_waitcnt lgkmcnt(0)
	s_barrier
	buffer_gl0_inv
	ds_read2_b64 v[8:11], v57 offset0:64 offset1:76
	ds_read2_b64 v[4:7], v57 offset0:112 offset1:128
	;; [unrolled: 1-line block ×4, first 2 shown]
	ds_read_b64 v[36:37], v59
	ds_read_b64 v[34:35], v61
	;; [unrolled: 1-line block ×4, first 2 shown]
	ds_read2_b64 v[20:23], v57 offset0:164 offset1:176
	ds_read_b64 v[28:29], v58
                                        ; implicit-def: $vgpr3
	s_and_saveexec_b32 s1, s0
	s_cbranch_execz .LBB0_10
; %bb.9:
	ds_read_b64 v[26:27], v60
	ds_read2_b64 v[0:3], v57 offset0:124 offset1:188
.LBB0_10:
	s_or_b32 exec_lo, exec_lo, s1
	v_and_b32_e32 v38, 6, v38
	v_and_b32_e32 v69, 3, v44
	v_lshrrev_b32_e32 v72, 2, v54
	v_lshrrev_b32_e32 v73, 2, v55
	;; [unrolled: 1-line block ×3, first 2 shown]
	v_lshlrev_b32_e32 v68, 3, v38
	v_lshlrev_b32_e32 v70, 4, v69
	v_lshrrev_b32_e32 v71, 2, v44
	v_lshrrev_b32_e32 v67, 2, v67
	v_mul_lo_u32 v72, v72, 12
	s_clause 0x3
	global_load_dwordx2 v[38:39], v68, s[4:5] offset:16
	global_load_dwordx2 v[40:41], v68, s[4:5] offset:24
	;; [unrolled: 1-line block ×3, first 2 shown]
	global_load_dword v70, v70, s[4:5] offset:16
	v_mul_lo_u32 v73, v73, 12
	v_mul_lo_u32 v74, v74, 12
	v_mul_u32_u24_e32 v71, 12, v71
	v_mul_lo_u32 v67, v67, 12
	s_waitcnt vmcnt(0) lgkmcnt(0)
	v_or_b32_e32 v72, v72, v69
	s_barrier
	v_or_b32_e32 v71, v71, v69
	v_or_b32_e32 v73, v73, v69
	v_or_b32_e32 v74, v74, v69
	buffer_gl0_inv
	v_or_b32_e32 v67, v67, v69
	v_lshlrev_b32_e32 v69, 3, v71
	v_lshlrev_b32_e32 v71, 3, v72
	;; [unrolled: 1-line block ×5, first 2 shown]
	v_add3_u32 v69, 0, v69, v66
	v_add3_u32 v71, 0, v71, v66
	;; [unrolled: 1-line block ×5, first 2 shown]
	v_mul_f32_e32 v74, v39, v9
	v_mul_f32_e32 v75, v39, v8
	;; [unrolled: 1-line block ×20, first 2 shown]
	v_fma_f32 v8, v70, v8, -v74
	v_fmac_f32_e32 v75, v70, v9
	v_fma_f32 v6, v43, v6, -v76
	v_fmac_f32_e32 v77, v43, v7
	;; [unrolled: 2-line block ×10, first 2 shown]
	v_add_f32_e32 v15, v8, v6
	v_add_f32_e32 v18, v75, v77
	;; [unrolled: 1-line block ×7, first 2 shown]
	v_sub_f32_e32 v16, v75, v77
	v_add_f32_e32 v17, v37, v75
	v_sub_f32_e32 v19, v8, v6
	v_sub_f32_e32 v21, v79, v81
	v_add_f32_e32 v22, v35, v79
	v_add_f32_e32 v70, v30, v10
	v_sub_f32_e32 v75, v83, v85
	v_add_f32_e32 v76, v31, v83
	v_sub_f32_e32 v79, v10, v11
	v_add_f32_e32 v10, v32, v12
	v_add_f32_e32 v80, v12, v13
	v_sub_f32_e32 v82, v87, v89
	v_add_f32_e32 v83, v33, v87
	;; [unrolled: 3-line block ×4, first 2 shown]
	v_add_f32_e32 v39, v39, v41
	v_fma_f32 v36, -0.5, v15, v36
	v_fmac_f32_e32 v37, -0.5, v18
	v_add_f32_e32 v8, v34, v7
	v_sub_f32_e32 v43, v7, v9
	v_fma_f32 v34, -0.5, v20, v34
	v_fmac_f32_e32 v35, -0.5, v23
	v_fma_f32 v30, -0.5, v74, v30
	v_fmac_f32_e32 v31, -0.5, v78
	v_sub_f32_e32 v91, v4, v14
	v_add_f32_e32 v4, v5, v6
	v_add_f32_e32 v5, v17, v77
	v_fma_f32 v32, -0.5, v80, v32
	v_fmac_f32_e32 v33, -0.5, v84
	v_add_f32_e32 v12, v12, v14
	v_fma_f32 v28, -0.5, v87, v28
	v_fmac_f32_e32 v29, -0.5, v39
	v_fmamk_f32 v14, v16, 0x3f5db3d7, v36
	v_fmamk_f32 v15, v19, 0xbf5db3d7, v37
	v_fmac_f32_e32 v36, 0xbf5db3d7, v16
	v_fmac_f32_e32 v37, 0x3f5db3d7, v19
	v_add_f32_e32 v6, v8, v9
	v_add_f32_e32 v7, v22, v81
	v_fmamk_f32 v16, v21, 0x3f5db3d7, v34
	v_fmamk_f32 v17, v43, 0xbf5db3d7, v35
	v_fmac_f32_e32 v34, 0xbf5db3d7, v21
	v_fmac_f32_e32 v35, 0x3f5db3d7, v43
	v_add_f32_e32 v8, v70, v11
	v_add_f32_e32 v9, v76, v85
	v_fmamk_f32 v18, v75, 0x3f5db3d7, v30
	v_fmamk_f32 v19, v79, 0xbf5db3d7, v31
	v_add_f32_e32 v10, v10, v13
	v_add_f32_e32 v11, v83, v89
	;; [unrolled: 1-line block ×3, first 2 shown]
	v_fmac_f32_e32 v30, 0xbf5db3d7, v75
	v_fmac_f32_e32 v31, 0x3f5db3d7, v79
	v_fmamk_f32 v20, v82, 0x3f5db3d7, v32
	v_fmac_f32_e32 v32, 0xbf5db3d7, v82
	v_fmamk_f32 v21, v86, 0xbf5db3d7, v33
	;; [unrolled: 2-line block ×4, first 2 shown]
	v_fmac_f32_e32 v29, 0x3f5db3d7, v91
	ds_write2_b64 v69, v[4:5], v[14:15] offset1:4
	ds_write_b64 v69, v[36:37] offset:64
	ds_write2_b64 v71, v[6:7], v[16:17] offset1:4
	ds_write_b64 v71, v[34:35] offset:64
	ds_write2_b64 v72, v[8:9], v[18:19] offset1:4
	ds_write_b64 v72, v[30:31] offset:64
	ds_write2_b64 v73, v[10:11], v[20:21] offset1:4
	ds_write_b64 v73, v[32:33] offset:64
	ds_write2_b64 v67, v[12:13], v[22:23] offset1:4
	ds_write_b64 v67, v[28:29] offset:64
	s_and_saveexec_b32 s1, s0
	s_cbranch_execz .LBB0_12
; %bb.11:
	v_add_co_u32 v4, s0, s4, v68
	v_add_co_ci_u32_e64 v5, null, s5, 0, s0
	v_mul_f32_e32 v7, v1, v42
	global_load_dword v4, v[4:5], off offset:28
	v_mul_f32_e32 v5, v0, v42
	v_fma_f32 v0, v0, v38, -v7
	v_fmac_f32_e32 v5, v1, v38
	v_add_f32_e32 v7, v26, v0
	s_waitcnt vmcnt(0)
	v_mul_f32_e32 v6, v2, v4
	v_mul_f32_e32 v4, v3, v4
	v_fmac_f32_e32 v6, v3, v40
	v_fma_f32 v2, v2, v40, -v4
	v_add_f32_e32 v3, v27, v5
	v_add_f32_e32 v1, v5, v6
	;; [unrolled: 1-line block ×3, first 2 shown]
	v_sub_f32_e32 v8, v0, v2
	v_sub_f32_e32 v9, v5, v6
	v_add_f32_e32 v3, v3, v6
	v_fma_f32 v1, -0.5, v1, v27
	v_fma_f32 v0, -0.5, v4, v26
	v_add_f32_e32 v2, v7, v2
	v_fmamk_f32 v5, v8, 0x3f5db3d7, v1
	v_fmac_f32_e32 v1, 0xbf5db3d7, v8
	v_fmamk_f32 v4, v9, 0xbf5db3d7, v0
	v_fmac_f32_e32 v0, 0x3f5db3d7, v9
	ds_write2_b64 v57, v[2:3], v[0:1] offset0:180 offset1:184
	ds_write_b64 v57, v[4:5] offset:1504
.LBB0_12:
	s_or_b32 exec_lo, exec_lo, s1
	v_and_b32_e32 v5, 0xff, v55
	v_and_b32_e32 v6, 0xff, v56
	v_mul_u32_u24_e32 v0, 3, v44
	s_waitcnt lgkmcnt(0)
	s_barrier
	v_mul_lo_u16 v5, 0xab, v5
	v_mul_lo_u16 v6, 0xab, v6
	v_lshlrev_b32_e32 v0, 3, v0
	buffer_gl0_inv
	v_mov_b32_e32 v23, 3
	v_lshrrev_b16 v5, 11, v5
	v_lshrrev_b16 v6, 11, v6
	s_clause 0x1
	global_load_dwordx4 v[1:4], v0, s[4:5] offset:80
	global_load_dwordx2 v[21:22], v0, s[4:5] offset:96
	v_mul_lo_u16 v5, v5, 12
	v_sub_nc_u16 v71, v55, v5
	v_mul_lo_u16 v5, v6, 12
	v_mul_u32_u24_sdwa v6, v71, v23 dst_sel:DWORD dst_unused:UNUSED_PAD src0_sel:BYTE_0 src1_sel:DWORD
	v_sub_nc_u16 v72, v56, v5
	v_lshlrev_b32_sdwa v77, v23, v71 dst_sel:DWORD dst_unused:UNUSED_PAD src0_sel:DWORD src1_sel:BYTE_0
	v_lshlrev_b32_e32 v9, 3, v6
	v_mul_u32_u24_sdwa v10, v72, v23 dst_sel:DWORD dst_unused:UNUSED_PAD src0_sel:BYTE_0 src1_sel:DWORD
	v_lshlrev_b32_sdwa v23, v23, v72 dst_sel:DWORD dst_unused:UNUSED_PAD src0_sel:DWORD src1_sel:BYTE_0
	v_add3_u32 v77, 0, v77, v66
	global_load_dwordx4 v[5:8], v9, s[4:5] offset:80
	v_lshlrev_b32_e32 v13, 3, v10
	v_add3_u32 v23, 0, v23, v66
	s_clause 0x2
	global_load_dwordx2 v[30:31], v9, s[4:5] offset:96
	global_load_dwordx4 v[9:12], v13, s[4:5] offset:80
	global_load_dwordx2 v[32:33], v13, s[4:5] offset:96
	ds_read_b64 v[34:35], v58
	ds_read_b64 v[36:37], v59
	ds_read_b64 v[38:39], v57 offset:768
	ds_read2_b64 v[13:16], v57 offset0:144 offset1:156
	ds_read_b64 v[40:41], v60
	ds_read2_b32 v[42:43], v57 offset0:216 offset1:217
	ds_read_b64 v[67:68], v61
	ds_read_b64 v[69:70], v63
	ds_read2_b64 v[17:20], v57 offset0:120 offset1:132
	ds_read2_b64 v[26:29], v57 offset0:168 offset1:180
	ds_read_b64 v[71:72], v65
	ds_read_b64 v[73:74], v62
	ds_read_b64 v[75:76], v64
	s_waitcnt vmcnt(0) lgkmcnt(0)
	s_barrier
	buffer_gl0_inv
	v_mul_f32_e32 v66, v2, v35
	v_mul_f32_e32 v78, v2, v34
	;; [unrolled: 1-line block ×12, first 2 shown]
	v_fma_f32 v34, v1, v34, -v66
	v_fmac_f32_e32 v78, v1, v35
	v_fma_f32 v35, v3, v38, -v79
	v_fmac_f32_e32 v80, v3, v39
	;; [unrolled: 2-line block ×6, first 2 shown]
	v_sub_f32_e32 v15, v36, v35
	v_sub_f32_e32 v16, v37, v80
	;; [unrolled: 1-line block ×8, first 2 shown]
	v_fma_f32 v36, v36, 2.0, -v15
	v_fma_f32 v37, v37, 2.0, -v16
	;; [unrolled: 1-line block ×8, first 2 shown]
	v_sub_f32_e32 v1, v15, v13
	v_add_f32_e32 v2, v16, v3
	v_sub_f32_e32 v3, v35, v21
	v_sub_f32_e32 v13, v36, v22
	;; [unrolled: 1-line block ×5, first 2 shown]
	v_mul_f32_e32 v41, v74, v6
	v_mul_f32_e32 v6, v73, v6
	;; [unrolled: 1-line block ×12, first 2 shown]
	v_add_f32_e32 v4, v38, v4
	v_fma_f32 v15, v15, 2.0, -v1
	v_fma_f32 v16, v16, 2.0, -v2
	ds_write2_b64 v57, v[13:14], v[1:2] offset0:24 offset1:36
	v_fma_f32 v1, v73, v5, -v41
	v_fmac_f32_e32 v6, v74, v5
	v_fma_f32 v2, v17, v7, -v42
	v_fmac_f32_e32 v8, v18, v7
	;; [unrolled: 2-line block ×3, first 2 shown]
	v_fma_f32 v36, v36, 2.0, -v13
	v_fma_f32 v37, v37, 2.0, -v14
	v_fma_f32 v7, v75, v9, -v66
	v_fmac_f32_e32 v10, v76, v9
	v_fma_f32 v9, v19, v11, -v67
	v_fmac_f32_e32 v12, v20, v11
	;; [unrolled: 2-line block ×3, first 2 shown]
	v_fma_f32 v34, v35, 2.0, -v3
	v_fma_f32 v35, v38, 2.0, -v4
	;; [unrolled: 1-line block ×4, first 2 shown]
	v_sub_f32_e32 v13, v69, v2
	v_sub_f32_e32 v14, v70, v8
	;; [unrolled: 1-line block ×4, first 2 shown]
	ds_write2_b64 v57, v[36:37], v[15:16] offset1:12
	ds_write_b64 v58, v[38:39]
	ds_write2_b64 v57, v[34:35], v[21:22] offset0:60 offset1:72
	v_sub_f32_e32 v15, v71, v9
	v_sub_f32_e32 v16, v72, v12
	;; [unrolled: 1-line block ×4, first 2 shown]
	v_fma_f32 v17, v69, 2.0, -v13
	v_fma_f32 v18, v70, 2.0, -v14
	;; [unrolled: 1-line block ×8, first 2 shown]
	v_sub_f32_e32 v1, v13, v5
	v_add_f32_e32 v2, v14, v2
	v_sub_f32_e32 v5, v15, v9
	v_add_f32_e32 v6, v16, v8
	v_sub_f32_e32 v7, v17, v11
	v_sub_f32_e32 v8, v18, v12
	;; [unrolled: 1-line block ×4, first 2 shown]
	v_fma_f32 v9, v13, 2.0, -v1
	v_fma_f32 v10, v14, 2.0, -v2
	;; [unrolled: 1-line block ×8, first 2 shown]
	ds_write_b64 v57, v[3:4] offset:672
	ds_write2_b64 v77, v[7:8], v[1:2] offset0:120 offset1:132
	ds_write2_b64 v23, v[11:12], v[5:6] offset0:168 offset1:180
	;; [unrolled: 1-line block ×4, first 2 shown]
	s_waitcnt lgkmcnt(0)
	s_barrier
	buffer_gl0_inv
	s_and_saveexec_b32 s0, vcc_lo
	s_cbranch_execz .LBB0_14
; %bb.13:
	v_add_co_u32 v4, s0, s4, v0
	v_add_co_ci_u32_e64 v5, null, s5, 0, s0
	v_mul_i32_i24_e32 v12, 3, v56
	v_mov_b32_e32 v13, 0
	v_mad_u64_u32 v[26:27], null, s2, v44, 0
	s_clause 0x1
	global_load_dwordx4 v[0:3], v[4:5], off offset:368
	global_load_dwordx2 v[32:33], v[4:5], off offset:384
	v_lshlrev_b64 v[4:5], 3, v[12:13]
	v_mul_i32_i24_e32 v12, 3, v55
	v_mad_u64_u32 v[28:29], null, s2, v52, 0
	v_mad_u64_u32 v[40:41], null, s2, v45, 0
	v_add_co_u32 v8, vcc_lo, s4, v4
	v_add_co_ci_u32_e32 v9, vcc_lo, s5, v5, vcc_lo
	s_clause 0x1
	global_load_dwordx4 v[4:7], v[8:9], off offset:368
	global_load_dwordx2 v[34:35], v[8:9], off offset:384
	v_lshlrev_b64 v[8:9], 3, v[12:13]
	v_mul_i32_i24_e32 v12, 3, v54
	v_mad_u64_u32 v[42:43], null, s2, v46, 0
	v_mul_hi_u32 v68, 0x5555556, v47
	v_mul_hi_u32 v69, 0x5555556, v48
	v_lshlrev_b64 v[12:13], 3, v[12:13]
	v_add_co_u32 v14, vcc_lo, s4, v8
	v_add_co_ci_u32_e32 v15, vcc_lo, s5, v9, vcc_lo
	v_mad_u64_u32 v[66:67], null, s2, v51, 0
	v_add_co_u32 v16, vcc_lo, s4, v12
	s_clause 0x1
	global_load_dwordx4 v[8:11], v[14:15], off offset:368
	global_load_dwordx2 v[36:37], v[14:15], off offset:384
	v_add_co_ci_u32_e32 v17, vcc_lo, s5, v13, vcc_lo
	s_clause 0x1
	global_load_dwordx4 v[12:15], v[16:17], off offset:368
	global_load_dwordx2 v[38:39], v[16:17], off offset:384
	v_add_co_u32 v93, vcc_lo, s6, v24
	v_add_co_ci_u32_e32 v94, vcc_lo, s7, v25, vcc_lo
	v_mad_u64_u32 v[24:25], null, s2, v49, 0
	v_mad_u64_u32 v[30:31], null, s2, v53, 0
	;; [unrolled: 1-line block ×3, first 2 shown]
	v_mad_u32_u24 v80, 0x90, v68, v47
	v_mad_u32_u24 v81, 0x90, v69, v48
	v_mad_u64_u32 v[47:48], null, s3, v44, v[27:28]
	v_mad_u64_u32 v[44:45], null, s3, v45, v[41:42]
	v_mov_b32_e32 v56, v67
	v_mad_u64_u32 v[48:49], null, s3, v49, v[25:26]
	v_mad_u64_u32 v[67:68], null, s3, v52, v[29:30]
	;; [unrolled: 1-line block ×6, first 2 shown]
	v_add_nc_u32_e32 v56, 48, v80
	v_mad_u64_u32 v[70:71], null, s2, v81, 0
	v_add_nc_u32_e32 v83, 0x90, v80
	v_add_nc_u32_e32 v82, 0x60, v80
	v_mad_u64_u32 v[72:73], null, s2, v56, 0
	v_add_nc_u32_e32 v84, 48, v81
	v_add_nc_u32_e32 v85, 0x60, v81
	v_mov_b32_e32 v41, v44
	v_mov_b32_e32 v43, v45
	;; [unrolled: 1-line block ×6, first 2 shown]
	v_mad_u64_u32 v[46:47], null, s2, v83, 0
	v_add_nc_u32_e32 v95, 0x90, v81
	v_mad_u64_u32 v[74:75], null, s2, v82, 0
	v_mad_u64_u32 v[76:77], null, s2, v84, 0
	;; [unrolled: 1-line block ×3, first 2 shown]
	v_mov_b32_e32 v25, v48
	v_lshlrev_b64 v[48:49], 3, v[54:55]
	v_mov_b32_e32 v29, v67
	v_mov_b32_e32 v67, v50
	;; [unrolled: 1-line block ×3, first 2 shown]
	v_lshlrev_b64 v[26:27], 3, v[26:27]
	v_lshlrev_b64 v[24:25], 3, v[24:25]
	v_lshlrev_b64 v[28:29], 3, v[28:29]
	ds_read2_b64 v[16:19], v57 offset0:120 offset1:132
	ds_read2_b64 v[20:23], v57 offset0:96 offset1:108
	v_lshlrev_b64 v[40:41], 3, v[40:41]
	v_lshlrev_b64 v[42:43], 3, v[42:43]
	;; [unrolled: 1-line block ×3, first 2 shown]
	s_waitcnt vmcnt(6)
	v_mad_u64_u32 v[52:53], null, s3, v53, v[31:32]
	v_mad_u64_u32 v[53:54], null, s3, v80, v[44:45]
	v_mov_b32_e32 v44, v73
	v_mad_u64_u32 v[54:55], null, s3, v81, v[45:46]
	v_mad_u64_u32 v[80:81], null, s3, v83, v[47:48]
	v_mov_b32_e32 v31, v52
	;; [unrolled: 3-line block ×3, first 2 shown]
	v_mov_b32_e32 v47, v79
	v_lshlrev_b64 v[30:31], 3, v[30:31]
	v_mov_b32_e32 v69, v53
	v_mad_u64_u32 v[55:56], null, s3, v82, v[50:51]
	v_mad_u64_u32 v[81:82], null, s3, v84, v[45:46]
	;; [unrolled: 1-line block ×3, first 2 shown]
	v_add_co_u32 v83, vcc_lo, v93, v26
	v_add_co_ci_u32_e32 v84, vcc_lo, v94, v27, vcc_lo
	v_add_co_u32 v85, vcc_lo, v93, v24
	v_add_co_ci_u32_e32 v86, vcc_lo, v94, v25, vcc_lo
	v_add_co_u32 v87, vcc_lo, v93, v28
	v_mov_b32_e32 v28, v52
	v_add_co_ci_u32_e32 v88, vcc_lo, v94, v29, vcc_lo
	v_add_co_u32 v89, vcc_lo, v93, v30
	v_mad_u64_u32 v[28:29], null, s3, v95, v[28:29]
	ds_read2_b64 v[24:27], v57 offset0:144 offset1:156
	v_mov_b32_e32 v71, v54
	v_mov_b32_e32 v73, v44
	v_mov_b32_e32 v75, v55
	ds_read_b64 v[44:45], v65
	ds_read_b64 v[53:54], v63
	;; [unrolled: 1-line block ×8, first 2 shown]
	v_add_co_ci_u32_e32 v90, vcc_lo, v94, v31, vcc_lo
	v_add_co_u32 v40, vcc_lo, v93, v40
	v_add_co_ci_u32_e32 v41, vcc_lo, v94, v41, vcc_lo
	v_add_co_u32 v42, vcc_lo, v93, v42
	;; [unrolled: 2-line block ×3, first 2 shown]
	v_lshlrev_b64 v[68:69], 3, v[68:69]
	v_add_co_ci_u32_e32 v49, vcc_lo, v94, v49, vcc_lo
	v_add_co_u32 v66, vcc_lo, v93, v66
	v_lshlrev_b64 v[70:71], 3, v[70:71]
	v_mov_b32_e32 v52, v28
	s_waitcnt lgkmcnt(0)
	v_mul_f32_e32 v28, v1, v30
	v_mul_f32_e32 v58, v0, v30
	v_add_co_ci_u32_e32 v67, vcc_lo, v94, v67, vcc_lo
	v_lshlrev_b64 v[72:73], 3, v[72:73]
	v_add_co_u32 v68, vcc_lo, v93, v68
	v_mov_b32_e32 v47, v80
	v_add_co_ci_u32_e32 v69, vcc_lo, v94, v69, vcc_lo
	v_lshlrev_b64 v[74:75], 3, v[74:75]
	v_add_co_u32 v70, vcc_lo, v93, v70
	v_fma_f32 v80, v0, v29, -v28
	v_fmac_f32_e32 v58, v1, v29
	ds_read2_b64 v[28:31], v57 offset0:168 offset1:180
	v_mov_b32_e32 v77, v81
	v_add_co_ci_u32_e32 v71, vcc_lo, v94, v71, vcc_lo
	v_lshlrev_b64 v[46:47], 3, v[46:47]
	v_add_co_u32 v72, vcc_lo, v93, v72
	v_mov_b32_e32 v79, v82
	v_add_co_ci_u32_e32 v73, vcc_lo, v94, v73, vcc_lo
	v_mul_f32_e32 v65, v2, v21
	v_mul_f32_e32 v21, v3, v21
	v_lshlrev_b64 v[76:77], 3, v[76:77]
	v_add_co_u32 v74, vcc_lo, v93, v74
	v_add_co_ci_u32_e32 v75, vcc_lo, v94, v75, vcc_lo
	v_add_co_u32 v46, vcc_lo, v93, v46
	v_lshlrev_b64 v[0:1], 3, v[78:79]
	v_fmac_f32_e32 v65, v3, v20
	v_fma_f32 v20, v2, v20, -v21
	v_mul_f32_e32 v2, v33, v25
	v_mul_f32_e32 v21, v32, v25
	v_add_co_ci_u32_e32 v47, vcc_lo, v94, v47, vcc_lo
	v_add_co_u32 v76, vcc_lo, v93, v76
	v_lshlrev_b64 v[50:51], 3, v[51:52]
	v_add_co_ci_u32_e32 v77, vcc_lo, v94, v77, vcc_lo
	v_add_co_u32 v0, vcc_lo, v93, v0
	v_fma_f32 v25, v32, v24, -v2
	v_fmac_f32_e32 v21, v33, v24
	v_add_co_ci_u32_e32 v1, vcc_lo, v94, v1, vcc_lo
	v_add_co_u32 v2, vcc_lo, v93, v50
	v_add_co_ci_u32_e32 v3, vcc_lo, v94, v51, vcc_lo
	v_sub_f32_e32 v24, v92, v65
	v_sub_f32_e32 v25, v80, v25
	;; [unrolled: 1-line block ×4, first 2 shown]
	s_waitcnt vmcnt(5)
	v_mul_f32_e32 v21, v6, v19
	v_mul_f32_e32 v33, v5, v64
	s_waitcnt vmcnt(4) lgkmcnt(0)
	v_mul_f32_e32 v50, v35, v31
	v_mul_f32_e32 v51, v7, v19
	;; [unrolled: 1-line block ×4, first 2 shown]
	v_fma_f32 v57, v92, 2.0, -v24
	v_fma_f32 v58, v58, 2.0, -v20
	;; [unrolled: 1-line block ×3, first 2 shown]
	v_sub_f32_e32 v19, v32, v20
	v_add_f32_e32 v20, v24, v25
	v_fma_f32 v25, v80, 2.0, -v25
	v_fmac_f32_e32 v21, v7, v18
	v_fma_f32 v33, v4, v63, -v33
	v_fma_f32 v34, v34, v30, -v50
	;; [unrolled: 1-line block ×3, first 2 shown]
	v_fmac_f32_e32 v52, v63, v5
	v_fmac_f32_e32 v31, v30, v35
	s_waitcnt vmcnt(3)
	v_mul_f32_e32 v30, v10, v17
	v_mul_f32_e32 v35, v9, v62
	s_waitcnt vmcnt(2)
	v_mul_f32_e32 v50, v37, v29
	v_mul_f32_e32 v17, v11, v17
	;; [unrolled: 1-line block ×4, first 2 shown]
	v_fma_f32 v5, v24, 2.0, -v20
	v_fma_f32 v4, v32, 2.0, -v19
	v_sub_f32_e32 v7, v57, v58
	v_sub_f32_e32 v6, v64, v25
	;; [unrolled: 1-line block ×6, first 2 shown]
	v_fmac_f32_e32 v30, v11, v16
	v_fma_f32 v31, v8, v61, -v35
	v_fma_f32 v32, v36, v28, -v50
	;; [unrolled: 1-line block ×3, first 2 shown]
	v_fmac_f32_e32 v29, v28, v37
	s_waitcnt vmcnt(1)
	v_mul_f32_e32 v17, v14, v23
	v_mul_f32_e32 v28, v13, v60
	s_waitcnt vmcnt(0)
	v_mul_f32_e32 v34, v39, v27
	v_mul_f32_e32 v23, v15, v23
	;; [unrolled: 1-line block ×4, first 2 shown]
	v_fmac_f32_e32 v51, v61, v9
	v_fma_f32 v9, v57, 2.0, -v7
	v_fma_f32 v8, v64, 2.0, -v6
	v_add_f32_e32 v11, v21, v24
	v_sub_f32_e32 v10, v18, v25
	v_fma_f32 v37, v44, 2.0, -v18
	v_fma_f32 v24, v33, 2.0, -v24
	v_fmac_f32_e32 v17, v15, v22
	v_fma_f32 v15, v12, v59, -v28
	v_fma_f32 v12, v38, v26, -v34
	;; [unrolled: 1-line block ×3, first 2 shown]
	v_fmac_f32_e32 v35, v13, v59
	v_fmac_f32_e32 v27, v26, v39
	v_fma_f32 v36, v45, 2.0, -v21
	v_fma_f32 v25, v52, 2.0, -v25
	global_store_dwordx2 v[83:84], v[8:9], off
	global_store_dwordx2 v[85:86], v[4:5], off
	;; [unrolled: 1-line block ×4, first 2 shown]
	v_fma_f32 v4, v18, 2.0, -v10
	v_sub_f32_e32 v6, v37, v24
	v_sub_f32_e32 v23, v56, v17
	;; [unrolled: 1-line block ×10, first 2 shown]
	v_fma_f32 v25, v56, 2.0, -v23
	v_fma_f32 v20, v35, 2.0, -v24
	;; [unrolled: 1-line block ×4, first 2 shown]
	v_sub_f32_e32 v8, v33, v16
	v_fma_f32 v26, v54, 2.0, -v30
	v_fma_f32 v16, v51, 2.0, -v16
	v_fma_f32 v28, v53, 2.0, -v33
	v_fma_f32 v22, v31, 2.0, -v32
	v_fma_f32 v5, v21, 2.0, -v11
	v_sub_f32_e32 v21, v25, v20
	v_sub_f32_e32 v20, v27, v29
	v_add_f32_e32 v19, v23, v18
	v_sub_f32_e32 v18, v14, v24
	v_sub_f32_e32 v17, v26, v16
	;; [unrolled: 1-line block ×3, first 2 shown]
	v_add_f32_e32 v9, v30, v32
	v_fma_f32 v25, v25, 2.0, -v21
	v_fma_f32 v24, v27, 2.0, -v20
	;; [unrolled: 1-line block ×10, first 2 shown]
	global_store_dwordx2 v[40:41], v[24:25], off
	global_store_dwordx2 v[42:43], v[22:23], off
	;; [unrolled: 1-line block ×12, first 2 shown]
.LBB0_14:
	s_endpgm
	.section	.rodata,"a",@progbits
	.p2align	6, 0x0
	.amdhsa_kernel fft_rtc_fwd_len192_factors_2_2_3_4_4_wgs_192_tpt_12_dim3_sp_ip_CI_sbrr_dirReg
		.amdhsa_group_segment_fixed_size 0
		.amdhsa_private_segment_fixed_size 0
		.amdhsa_kernarg_size 80
		.amdhsa_user_sgpr_count 6
		.amdhsa_user_sgpr_private_segment_buffer 1
		.amdhsa_user_sgpr_dispatch_ptr 0
		.amdhsa_user_sgpr_queue_ptr 0
		.amdhsa_user_sgpr_kernarg_segment_ptr 1
		.amdhsa_user_sgpr_dispatch_id 0
		.amdhsa_user_sgpr_flat_scratch_init 0
		.amdhsa_user_sgpr_private_segment_size 0
		.amdhsa_wavefront_size32 1
		.amdhsa_uses_dynamic_stack 0
		.amdhsa_system_sgpr_private_segment_wavefront_offset 0
		.amdhsa_system_sgpr_workgroup_id_x 1
		.amdhsa_system_sgpr_workgroup_id_y 0
		.amdhsa_system_sgpr_workgroup_id_z 0
		.amdhsa_system_sgpr_workgroup_info 0
		.amdhsa_system_vgpr_workitem_id 0
		.amdhsa_next_free_vgpr 96
		.amdhsa_next_free_sgpr 12
		.amdhsa_reserve_vcc 1
		.amdhsa_reserve_flat_scratch 0
		.amdhsa_float_round_mode_32 0
		.amdhsa_float_round_mode_16_64 0
		.amdhsa_float_denorm_mode_32 3
		.amdhsa_float_denorm_mode_16_64 3
		.amdhsa_dx10_clamp 1
		.amdhsa_ieee_mode 1
		.amdhsa_fp16_overflow 0
		.amdhsa_workgroup_processor_mode 1
		.amdhsa_memory_ordered 1
		.amdhsa_forward_progress 0
		.amdhsa_shared_vgpr_count 0
		.amdhsa_exception_fp_ieee_invalid_op 0
		.amdhsa_exception_fp_denorm_src 0
		.amdhsa_exception_fp_ieee_div_zero 0
		.amdhsa_exception_fp_ieee_overflow 0
		.amdhsa_exception_fp_ieee_underflow 0
		.amdhsa_exception_fp_ieee_inexact 0
		.amdhsa_exception_int_div_zero 0
	.end_amdhsa_kernel
	.text
.Lfunc_end0:
	.size	fft_rtc_fwd_len192_factors_2_2_3_4_4_wgs_192_tpt_12_dim3_sp_ip_CI_sbrr_dirReg, .Lfunc_end0-fft_rtc_fwd_len192_factors_2_2_3_4_4_wgs_192_tpt_12_dim3_sp_ip_CI_sbrr_dirReg
                                        ; -- End function
	.section	.AMDGPU.csdata,"",@progbits
; Kernel info:
; codeLenInByte = 7008
; NumSgprs: 14
; NumVgprs: 96
; ScratchSize: 0
; MemoryBound: 0
; FloatMode: 240
; IeeeMode: 1
; LDSByteSize: 0 bytes/workgroup (compile time only)
; SGPRBlocks: 1
; VGPRBlocks: 11
; NumSGPRsForWavesPerEU: 14
; NumVGPRsForWavesPerEU: 96
; Occupancy: 10
; WaveLimiterHint : 1
; COMPUTE_PGM_RSRC2:SCRATCH_EN: 0
; COMPUTE_PGM_RSRC2:USER_SGPR: 6
; COMPUTE_PGM_RSRC2:TRAP_HANDLER: 0
; COMPUTE_PGM_RSRC2:TGID_X_EN: 1
; COMPUTE_PGM_RSRC2:TGID_Y_EN: 0
; COMPUTE_PGM_RSRC2:TGID_Z_EN: 0
; COMPUTE_PGM_RSRC2:TIDIG_COMP_CNT: 0
	.text
	.p2alignl 6, 3214868480
	.fill 48, 4, 3214868480
	.type	__hip_cuid_b7d55c974ac8deb,@object ; @__hip_cuid_b7d55c974ac8deb
	.section	.bss,"aw",@nobits
	.globl	__hip_cuid_b7d55c974ac8deb
__hip_cuid_b7d55c974ac8deb:
	.byte	0                               ; 0x0
	.size	__hip_cuid_b7d55c974ac8deb, 1

	.ident	"AMD clang version 19.0.0git (https://github.com/RadeonOpenCompute/llvm-project roc-6.4.0 25133 c7fe45cf4b819c5991fe208aaa96edf142730f1d)"
	.section	".note.GNU-stack","",@progbits
	.addrsig
	.addrsig_sym __hip_cuid_b7d55c974ac8deb
	.amdgpu_metadata
---
amdhsa.kernels:
  - .args:
      - .actual_access:  read_only
        .address_space:  global
        .offset:         0
        .size:           8
        .value_kind:     global_buffer
      - .actual_access:  read_only
        .address_space:  global
        .offset:         8
        .size:           8
        .value_kind:     global_buffer
      - .actual_access:  read_only
        .address_space:  global
        .offset:         16
        .size:           8
        .value_kind:     global_buffer
      - .offset:         24
        .size:           8
        .value_kind:     by_value
      - .actual_access:  read_only
        .address_space:  global
        .offset:         32
        .size:           8
        .value_kind:     global_buffer
      - .actual_access:  read_only
        .address_space:  global
        .offset:         40
        .size:           8
        .value_kind:     global_buffer
      - .offset:         48
        .size:           4
        .value_kind:     by_value
      - .actual_access:  read_only
        .address_space:  global
        .offset:         56
        .size:           8
        .value_kind:     global_buffer
      - .actual_access:  read_only
        .address_space:  global
        .offset:         64
        .size:           8
        .value_kind:     global_buffer
      - .address_space:  global
        .offset:         72
        .size:           8
        .value_kind:     global_buffer
    .group_segment_fixed_size: 0
    .kernarg_segment_align: 8
    .kernarg_segment_size: 80
    .language:       OpenCL C
    .language_version:
      - 2
      - 0
    .max_flat_workgroup_size: 192
    .name:           fft_rtc_fwd_len192_factors_2_2_3_4_4_wgs_192_tpt_12_dim3_sp_ip_CI_sbrr_dirReg
    .private_segment_fixed_size: 0
    .sgpr_count:     14
    .sgpr_spill_count: 0
    .symbol:         fft_rtc_fwd_len192_factors_2_2_3_4_4_wgs_192_tpt_12_dim3_sp_ip_CI_sbrr_dirReg.kd
    .uniform_work_group_size: 1
    .uses_dynamic_stack: false
    .vgpr_count:     96
    .vgpr_spill_count: 0
    .wavefront_size: 32
    .workgroup_processor_mode: 1
amdhsa.target:   amdgcn-amd-amdhsa--gfx1030
amdhsa.version:
  - 1
  - 2
...

	.end_amdgpu_metadata
